;; amdgpu-corpus repo=ROCm/rocFFT kind=compiled arch=gfx1201 opt=O3
	.text
	.amdgcn_target "amdgcn-amd-amdhsa--gfx1201"
	.amdhsa_code_object_version 6
	.protected	bluestein_single_fwd_len176_dim1_sp_op_CI_CI ; -- Begin function bluestein_single_fwd_len176_dim1_sp_op_CI_CI
	.globl	bluestein_single_fwd_len176_dim1_sp_op_CI_CI
	.p2align	8
	.type	bluestein_single_fwd_len176_dim1_sp_op_CI_CI,@function
bluestein_single_fwd_len176_dim1_sp_op_CI_CI: ; @bluestein_single_fwd_len176_dim1_sp_op_CI_CI
; %bb.0:
	s_load_b128 s[16:19], s[0:1], 0x28
	v_lshrrev_b32_e32 v1, 4, v0
	v_mov_b32_e32 v49, 0
	s_mov_b32 s2, exec_lo
	s_delay_alu instid0(VALU_DEP_2) | instskip(SKIP_1) | instid1(VALU_DEP_1)
	v_lshl_or_b32 v48, ttmp9, 2, v1
	s_wait_kmcnt 0x0
	v_cmpx_gt_u64_e64 s[16:17], v[48:49]
	s_cbranch_execz .LBB0_10
; %bb.1:
	s_clause 0x1
	s_load_b128 s[4:7], s[0:1], 0x18
	s_load_b128 s[8:11], s[0:1], 0x0
	s_wait_kmcnt 0x0
	s_load_b128 s[12:15], s[4:5], 0x0
	s_wait_kmcnt 0x0
	v_mad_co_u64_u32 v[2:3], null, s14, v48, 0
	v_and_b32_e32 v87, 15, v0
	s_lshl_b64 s[2:3], s[12:13], 7
	s_delay_alu instid0(VALU_DEP_2) | instskip(NEXT) | instid1(VALU_DEP_2)
	v_mov_b32_e32 v0, v3
	v_mad_co_u64_u32 v[4:5], null, s12, v87, 0
	v_lshlrev_b32_e32 v90, 3, v87
	s_clause 0x3
	global_load_b64 v[49:50], v90, s[8:9]
	global_load_b64 v[51:52], v90, s[8:9] offset:128
	global_load_b64 v[53:54], v90, s[8:9] offset:256
	;; [unrolled: 1-line block ×3, first 2 shown]
	v_mov_b32_e32 v3, v5
	v_mad_co_u64_u32 v[5:6], null, s15, v48, v[0:1]
	s_clause 0x4
	global_load_b64 v[57:58], v90, s[8:9] offset:512
	global_load_b64 v[61:62], v90, s[8:9] offset:640
	;; [unrolled: 1-line block ×5, first 2 shown]
	v_mad_co_u64_u32 v[6:7], null, s13, v87, v[3:4]
	v_mov_b32_e32 v3, v5
	s_delay_alu instid0(VALU_DEP_2) | instskip(NEXT) | instid1(VALU_DEP_2)
	v_mov_b32_e32 v5, v6
	v_lshlrev_b64_e32 v[2:3], 3, v[2:3]
	s_delay_alu instid0(VALU_DEP_2) | instskip(NEXT) | instid1(VALU_DEP_2)
	v_lshlrev_b64_e32 v[4:5], 3, v[4:5]
	v_add_co_u32 v0, vcc_lo, s18, v2
	s_delay_alu instid0(VALU_DEP_3) | instskip(NEXT) | instid1(VALU_DEP_2)
	v_add_co_ci_u32_e32 v3, vcc_lo, s19, v3, vcc_lo
	v_add_co_u32 v2, vcc_lo, v0, v4
	s_wait_alu 0xfffd
	s_delay_alu instid0(VALU_DEP_2) | instskip(NEXT) | instid1(VALU_DEP_2)
	v_add_co_ci_u32_e32 v3, vcc_lo, v3, v5, vcc_lo
	v_add_co_u32 v4, vcc_lo, v2, s2
	s_wait_alu 0xfffd
	s_delay_alu instid0(VALU_DEP_2)
	v_add_co_ci_u32_e32 v5, vcc_lo, s3, v3, vcc_lo
	global_load_b64 v[2:3], v[2:3], off
	v_add_co_u32 v6, vcc_lo, v4, s2
	s_wait_alu 0xfffd
	v_add_co_ci_u32_e32 v7, vcc_lo, s3, v5, vcc_lo
	global_load_b64 v[4:5], v[4:5], off
	v_add_co_u32 v8, vcc_lo, v6, s2
	s_wait_alu 0xfffd
	v_add_co_ci_u32_e32 v9, vcc_lo, s3, v7, vcc_lo
	s_delay_alu instid0(VALU_DEP_2) | instskip(SKIP_1) | instid1(VALU_DEP_2)
	v_add_co_u32 v10, vcc_lo, v8, s2
	s_wait_alu 0xfffd
	v_add_co_ci_u32_e32 v11, vcc_lo, s3, v9, vcc_lo
	s_clause 0x2
	global_load_b64 v[6:7], v[6:7], off
	global_load_b64 v[8:9], v[8:9], off
	;; [unrolled: 1-line block ×3, first 2 shown]
	v_add_co_u32 v12, vcc_lo, v10, s2
	s_wait_alu 0xfffd
	v_add_co_ci_u32_e32 v13, vcc_lo, s3, v11, vcc_lo
	s_delay_alu instid0(VALU_DEP_2) | instskip(SKIP_1) | instid1(VALU_DEP_2)
	v_add_co_u32 v10, vcc_lo, v12, s2
	s_wait_alu 0xfffd
	v_add_co_ci_u32_e32 v11, vcc_lo, s3, v13, vcc_lo
	global_load_b64 v[12:13], v[12:13], off
	v_add_co_u32 v16, vcc_lo, v10, s2
	s_wait_alu 0xfffd
	v_add_co_ci_u32_e32 v17, vcc_lo, s3, v11, vcc_lo
	global_load_b64 v[18:19], v[10:11], off
	;; [unrolled: 4-line block ×5, first 2 shown]
	s_clause 0x1
	global_load_b64 v[67:68], v90, s[8:9] offset:1152
	global_load_b64 v[69:70], v90, s[8:9] offset:1280
	global_load_b64 v[24:25], v[10:11], off
	v_mul_u32_u24_e32 v10, 0xb0, v1
	s_load_b128 s[4:7], s[6:7], 0x0
	s_load_b64 s[2:3], s[0:1], 0x38
	v_add_co_u32 v38, s0, s8, v90
	s_delay_alu instid0(VALU_DEP_2)
	v_or_b32_e32 v1, v10, v87
	v_lshl_or_b32 v88, v10, 3, v90
	v_cmp_gt_u32_e32 vcc_lo, 11, v87
	s_wait_alu 0xf1ff
	v_add_co_ci_u32_e64 v39, null, s9, 0, s0
	s_wait_loadcnt 0xc
	v_dual_mul_f32 v0, v3, v50 :: v_dual_lshlrev_b32 v89, 3, v1
	v_mul_f32_e32 v11, v2, v50
	s_delay_alu instid0(VALU_DEP_2) | instskip(SKIP_2) | instid1(VALU_DEP_3)
	v_fmac_f32_e32 v0, v2, v49
	s_wait_loadcnt 0xb
	v_mul_f32_e32 v2, v5, v52
	v_fma_f32 v1, v3, v49, -v11
	s_delay_alu instid0(VALU_DEP_2)
	v_fmac_f32_e32 v2, v4, v51
	ds_store_b64 v89, v[0:1]
	s_wait_loadcnt 0xa
	v_dual_mul_f32 v0, v7, v54 :: v_dual_mul_f32 v3, v4, v52
	s_wait_loadcnt 0x9
	v_dual_mul_f32 v1, v6, v54 :: v_dual_mul_f32 v4, v9, v56
	s_delay_alu instid0(VALU_DEP_2) | instskip(NEXT) | instid1(VALU_DEP_3)
	v_fmac_f32_e32 v0, v6, v53
	v_fma_f32 v3, v5, v51, -v3
	s_wait_loadcnt 0x8
	v_dual_mul_f32 v5, v8, v56 :: v_dual_mul_f32 v6, v15, v58
	v_fma_f32 v1, v7, v53, -v1
	v_dual_mul_f32 v7, v14, v58 :: v_dual_fmac_f32 v4, v8, v55
	s_delay_alu instid0(VALU_DEP_3) | instskip(SKIP_2) | instid1(VALU_DEP_3)
	v_fma_f32 v5, v9, v55, -v5
	s_wait_loadcnt 0x7
	v_dual_mul_f32 v9, v12, v62 :: v_dual_fmac_f32 v6, v14, v57
	v_fma_f32 v7, v15, v57, -v7
	s_wait_loadcnt 0x6
	v_dual_mul_f32 v11, v19, v64 :: v_dual_mul_f32 v8, v13, v62
	s_delay_alu instid0(VALU_DEP_3) | instskip(NEXT) | instid1(VALU_DEP_2)
	v_fma_f32 v9, v13, v61, -v9
	v_dual_fmac_f32 v11, v18, v63 :: v_dual_fmac_f32 v8, v12, v61
	s_wait_loadcnt 0x5
	v_dual_mul_f32 v13, v17, v66 :: v_dual_mul_f32 v12, v18, v64
	s_wait_loadcnt 0x4
	v_dual_mul_f32 v14, v16, v66 :: v_dual_mul_f32 v15, v23, v60
	s_delay_alu instid0(VALU_DEP_2) | instskip(NEXT) | instid1(VALU_DEP_3)
	v_dual_fmac_f32 v13, v16, v65 :: v_dual_mul_f32 v16, v22, v60
	v_fma_f32 v12, v19, v63, -v12
	s_wait_loadcnt 0x0
	v_mul_f32_e32 v19, v25, v70
	v_fma_f32 v14, v17, v65, -v14
	v_dual_fmac_f32 v15, v22, v59 :: v_dual_mul_f32 v18, v20, v68
	v_dual_mul_f32 v17, v21, v68 :: v_dual_mul_f32 v22, v24, v70
	v_fma_f32 v16, v23, v59, -v16
	v_fmac_f32_e32 v19, v24, v69
	s_delay_alu instid0(VALU_DEP_4) | instskip(NEXT) | instid1(VALU_DEP_4)
	v_fma_f32 v18, v21, v67, -v18
	v_fmac_f32_e32 v17, v20, v67
	v_fma_f32 v20, v25, v69, -v22
	ds_store_2addr_b64 v88, v[2:3], v[0:1] offset0:16 offset1:32
	ds_store_2addr_b64 v88, v[4:5], v[6:7] offset0:48 offset1:64
	;; [unrolled: 1-line block ×5, first 2 shown]
	v_mul_u32_u24_e32 v11, 11, v87
	global_wb scope:SCOPE_SE
	s_wait_dscnt 0x0
	s_wait_kmcnt 0x0
	s_barrier_signal -1
	s_barrier_wait -1
	global_inv scope:SCOPE_SE
	ds_load_b64 v[8:9], v89
	ds_load_2addr_b64 v[4:7], v88 offset0:16 offset1:32
	ds_load_2addr_b64 v[0:3], v88 offset0:144 offset1:160
	v_add_lshl_u32 v91, v10, v11, 3
	ds_load_2addr_b64 v[10:13], v88 offset0:48 offset1:64
	ds_load_2addr_b64 v[14:17], v88 offset0:112 offset1:128
	;; [unrolled: 1-line block ×3, first 2 shown]
	global_wb scope:SCOPE_SE
	s_wait_dscnt 0x0
	s_barrier_signal -1
	s_barrier_wait -1
	global_inv scope:SCOPE_SE
	v_dual_add_f32 v22, v8, v4 :: v_dual_add_f32 v23, v9, v5
	v_dual_add_f32 v24, v2, v4 :: v_dual_add_f32 v25, v3, v5
	v_dual_sub_f32 v4, v4, v2 :: v_dual_sub_f32 v5, v5, v3
	v_add_f32_e32 v26, v0, v6
	v_dual_sub_f32 v28, v6, v0 :: v_dual_sub_f32 v37, v13, v15
	v_dual_sub_f32 v42, v18, v20 :: v_dual_add_f32 v41, v21, v19
	v_dual_add_f32 v6, v22, v6 :: v_dual_add_f32 v27, v1, v7
	v_dual_add_f32 v30, v16, v10 :: v_dual_sub_f32 v29, v7, v1
	v_dual_sub_f32 v32, v10, v16 :: v_dual_sub_f32 v33, v11, v17
	v_dual_sub_f32 v36, v12, v14 :: v_dual_sub_f32 v43, v19, v21
	v_dual_mul_f32 v72, 0xbf4178ce, v4 :: v_dual_add_f32 v7, v23, v7
	v_dual_mul_f32 v22, 0xbf0a6770, v5 :: v_dual_mul_f32 v23, 0xbf0a6770, v4
	s_delay_alu instid0(VALU_DEP_4)
	v_mul_f32_e32 v92, 0xbf0a6770, v33
	v_dual_mul_f32 v44, 0xbf68dda4, v5 :: v_dual_mul_f32 v45, 0xbf68dda4, v4
	v_dual_mul_f32 v46, 0xbf7d64f0, v5 :: v_dual_mul_f32 v47, 0xbf7d64f0, v4
	;; [unrolled: 1-line block ×4, first 2 shown]
	v_dual_mul_f32 v95, 0x3f7d64f0, v37 :: v_dual_add_f32 v6, v6, v10
	v_dual_add_f32 v31, v17, v11 :: v_dual_add_f32 v34, v14, v12
	v_dual_add_f32 v35, v15, v13 :: v_dual_add_f32 v40, v20, v18
	v_dual_mul_f32 v73, 0xbf68dda4, v29 :: v_dual_mul_f32 v74, 0xbf68dda4, v28
	v_mul_f32_e32 v75, 0xbf4178ce, v29
	v_dual_mul_f32 v77, 0x3e903f40, v29 :: v_dual_mul_f32 v78, 0x3e903f40, v28
	v_dual_mul_f32 v79, 0x3f7d64f0, v29 :: v_dual_mul_f32 v80, 0x3f7d64f0, v28
	;; [unrolled: 1-line block ×8, first 2 shown]
	v_mul_f32_e32 v32, 0xbf4178ce, v32
	v_dual_mul_f32 v94, 0xbf4178ce, v37 :: v_dual_add_f32 v7, v7, v11
	v_dual_mul_f32 v97, 0xbe903f40, v37 :: v_dual_mul_f32 v102, 0xbe903f40, v43
	v_mul_f32_e32 v37, 0x3f68dda4, v37
	s_delay_alu instid0(VALU_DEP_3)
	v_dual_mul_f32 v100, 0xbf0a6770, v36 :: v_dual_add_f32 v7, v7, v13
	v_dual_mul_f32 v101, 0xbe903f40, v36 :: v_dual_mul_f32 v106, 0xbe903f40, v42
	v_dual_mul_f32 v103, 0x3f0a6770, v43 :: v_dual_add_f32 v6, v6, v12
	v_fma_f32 v10, 0x3f575c64, v24, -v22
	v_mul_f32_e32 v99, 0x3f7d64f0, v36
	v_mul_f32_e32 v36, 0x3f68dda4, v36
	v_dual_fmamk_f32 v11, v25, 0x3f575c64, v23 :: v_dual_fmac_f32 v22, 0x3f575c64, v24
	v_mul_f32_e32 v105, 0x3f68dda4, v43
	v_mul_f32_e32 v108, 0xbf4178ce, v42
	v_fma_f32 v23, 0x3f575c64, v25, -v23
	s_delay_alu instid0(VALU_DEP_4)
	v_add_f32_e32 v11, v9, v11
	v_fma_f32 v110, 0x3ed4b147, v24, -v44
	v_dual_fmamk_f32 v111, v25, 0x3ed4b147, v45 :: v_dual_fmac_f32 v44, 0x3ed4b147, v24
	v_mul_f32_e32 v107, 0x3f0a6770, v42
	v_fma_f32 v45, 0x3ed4b147, v25, -v45
	v_mul_f32_e32 v109, 0x3f68dda4, v42
	v_mul_f32_e32 v42, 0xbf7d64f0, v42
	v_fma_f32 v112, 0xbe11bafb, v24, -v46
	v_mul_f32_e32 v104, 0xbf4178ce, v43
	v_mul_f32_e32 v43, 0xbf7d64f0, v43
	v_dual_fmamk_f32 v113, v25, 0xbe11bafb, v47 :: v_dual_fmac_f32 v46, 0xbe11bafb, v24
	v_fma_f32 v114, 0xbf27a4f4, v24, -v71
	v_fmamk_f32 v115, v25, 0xbf27a4f4, v72
	v_fma_f32 v72, 0xbf27a4f4, v25, -v72
	s_delay_alu instid0(VALU_DEP_4)
	v_dual_fmamk_f32 v117, v25, 0xbf75a155, v4 :: v_dual_add_f32 v46, v8, v46
	v_fma_f32 v4, 0xbf75a155, v25, -v4
	v_fma_f32 v47, 0xbe11bafb, v25, -v47
	v_fmac_f32_e32 v71, 0xbf27a4f4, v24
	v_fma_f32 v116, 0xbf75a155, v24, -v5
	v_fmac_f32_e32 v5, 0xbf75a155, v24
	v_fma_f32 v24, 0x3ed4b147, v26, -v73
	v_fmamk_f32 v25, v27, 0x3ed4b147, v74
	v_dual_fmac_f32 v73, 0x3ed4b147, v26 :: v_dual_fmamk_f32 v140, v35, 0x3ed4b147, v36
	v_fma_f32 v74, 0x3ed4b147, v27, -v74
	v_fma_f32 v118, 0xbf27a4f4, v26, -v75
	v_fmac_f32_e32 v75, 0xbf27a4f4, v26
	v_fma_f32 v120, 0xbf75a155, v26, -v77
	v_dual_fmamk_f32 v121, v27, 0xbf75a155, v78 :: v_dual_add_f32 v72, v9, v72
	v_fmac_f32_e32 v77, 0xbf75a155, v26
	v_fma_f32 v78, 0xbf75a155, v27, -v78
	v_fma_f32 v122, 0xbe11bafb, v26, -v79
	v_fmamk_f32 v123, v27, 0xbe11bafb, v80
	v_fmac_f32_e32 v79, 0xbe11bafb, v26
	v_fma_f32 v80, 0xbe11bafb, v27, -v80
	v_fma_f32 v124, 0x3f575c64, v26, -v29
	v_dual_fmamk_f32 v125, v27, 0x3f575c64, v28 :: v_dual_add_f32 v4, v9, v4
	v_dual_fmac_f32 v29, 0x3f575c64, v26 :: v_dual_fmamk_f32 v138, v35, 0x3f575c64, v100
	v_fma_f32 v26, 0x3f575c64, v27, -v28
	v_fmamk_f32 v28, v31, 0xbe11bafb, v82
	v_fma_f32 v82, 0xbe11bafb, v31, -v82
	v_fma_f32 v126, 0xbf75a155, v30, -v83
	v_dual_fmamk_f32 v127, v31, 0xbf75a155, v84 :: v_dual_add_f32 v6, v6, v18
	v_fma_f32 v84, 0xbf75a155, v31, -v84
	v_fma_f32 v128, 0x3ed4b147, v30, -v85
	v_fmac_f32_e32 v85, 0x3ed4b147, v30
	v_fma_f32 v130, 0x3f575c64, v30, -v92
	v_dual_fmamk_f32 v131, v31, 0x3f575c64, v93 :: v_dual_fmac_f32 v92, 0x3f575c64, v30
	v_fma_f32 v93, 0x3f575c64, v31, -v93
	v_fma_f32 v132, 0xbf27a4f4, v30, -v33
	v_fmac_f32_e32 v33, 0xbf27a4f4, v30
	v_fma_f32 v134, 0x3f575c64, v34, -v96
	v_fmac_f32_e32 v96, 0x3f575c64, v34
	v_fma_f32 v135, 0xbf75a155, v34, -v97
	v_fma_f32 v136, 0x3ed4b147, v34, -v37
	v_fmac_f32_e32 v37, 0x3ed4b147, v34
	v_fma_f32 v100, 0x3f575c64, v35, -v100
	v_dual_fmamk_f32 v139, v35, 0xbf75a155, v101 :: v_dual_add_f32 v4, v26, v4
	v_fma_f32 v101, 0xbf75a155, v35, -v101
	v_fma_f32 v141, 0x3f575c64, v40, -v103
	v_fmac_f32_e32 v103, 0x3f575c64, v40
	v_fma_f32 v142, 0xbf27a4f4, v40, -v104
	v_fmac_f32_e32 v104, 0xbf27a4f4, v40
	v_fma_f32 v144, 0xbe11bafb, v40, -v43
	v_dual_fmamk_f32 v145, v41, 0x3f575c64, v107 :: v_dual_add_f32 v6, v6, v20
	v_fma_f32 v107, 0x3f575c64, v41, -v107
	v_fmamk_f32 v146, v41, 0xbf27a4f4, v108
	v_fma_f32 v108, 0xbf27a4f4, v41, -v108
	v_fmamk_f32 v148, v41, 0xbe11bafb, v42
	v_dual_add_f32 v10, v8, v10 :: v_dual_fmamk_f32 v129, v31, 0x3ed4b147, v86
	v_fma_f32 v86, 0x3ed4b147, v31, -v86
	v_fmamk_f32 v137, v35, 0xbe11bafb, v99
	v_fma_f32 v99, 0xbe11bafb, v35, -v99
	v_add_f32_e32 v12, v8, v22
	v_fmac_f32_e32 v83, 0xbf75a155, v30
	v_fma_f32 v143, 0x3ed4b147, v40, -v105
	v_dual_add_f32 v13, v9, v23 :: v_dual_add_f32 v22, v8, v110
	v_fmamk_f32 v119, v27, 0xbf27a4f4, v76
	v_fma_f32 v76, 0xbf27a4f4, v27, -v76
	v_fma_f32 v27, 0xbe11bafb, v30, -v81
	v_fmac_f32_e32 v81, 0xbe11bafb, v30
	v_fmamk_f32 v133, v31, 0xbf27a4f4, v32
	v_fma_f32 v30, 0xbf27a4f4, v31, -v32
	v_fma_f32 v31, 0xbf27a4f4, v34, -v94
	v_fmac_f32_e32 v94, 0xbf27a4f4, v34
	v_fma_f32 v32, 0xbe11bafb, v34, -v95
	v_fmac_f32_e32 v43, 0xbe11bafb, v40
	v_fmamk_f32 v147, v41, 0x3ed4b147, v109
	v_fma_f32 v109, 0x3ed4b147, v41, -v109
	v_add_f32_e32 v23, v9, v111
	v_add_f32_e32 v111, v8, v114
	v_dual_fmac_f32 v95, 0xbe11bafb, v34 :: v_dual_add_f32 v114, v9, v117
	v_fmac_f32_e32 v97, 0xbf75a155, v34
	v_fmamk_f32 v34, v35, 0xbf27a4f4, v98
	v_fma_f32 v98, 0xbf27a4f4, v35, -v98
	v_fma_f32 v35, 0x3ed4b147, v35, -v36
	;; [unrolled: 1-line block ×3, first 2 shown]
	v_fmac_f32_e32 v102, 0xbf75a155, v40
	v_fmac_f32_e32 v105, 0x3ed4b147, v40
	v_fmamk_f32 v40, v41, 0xbf75a155, v106
	v_fma_f32 v106, 0xbf75a155, v41, -v106
	v_fma_f32 v41, 0xbe11bafb, v41, -v42
	v_add_f32_e32 v42, v8, v44
	v_dual_add_f32 v44, v9, v45 :: v_dual_add_f32 v45, v8, v112
	v_dual_add_f32 v110, v9, v113 :: v_dual_add_f32 v71, v8, v71
	;; [unrolled: 1-line block ×3, first 2 shown]
	s_delay_alu instid0(VALU_DEP_4)
	v_add_f32_e32 v18, v75, v42
	v_dual_add_f32 v42, v122, v111 :: v_dual_add_f32 v113, v8, v116
	v_add_f32_e32 v8, v24, v10
	v_add_f32_e32 v10, v73, v12
	;; [unrolled: 1-line block ×5, first 2 shown]
	v_dual_add_f32 v47, v9, v47 :: v_dual_add_f32 v18, v83, v18
	v_add_f32_e32 v112, v9, v115
	s_delay_alu instid0(VALU_DEP_4) | instskip(NEXT) | instid1(VALU_DEP_4)
	v_add_f32_e32 v20, v128, v22
	v_add_f32_e32 v22, v85, v24
	v_dual_add_f32 v24, v130, v42 :: v_dual_add_f32 v9, v25, v11
	v_dual_add_f32 v6, v6, v14 :: v_dual_add_f32 v45, v79, v71
	v_add_f32_e32 v7, v7, v19
	v_dual_add_f32 v19, v76, v44 :: v_dual_add_f32 v14, v95, v18
	v_dual_add_f32 v5, v29, v5 :: v_dual_add_f32 v8, v27, v8
	v_add_f32_e32 v10, v81, v10
	v_add_f32_e32 v12, v126, v12
	;; [unrolled: 1-line block ×3, first 2 shown]
	v_dual_add_f32 v47, v124, v113 :: v_dual_add_f32 v18, v134, v20
	v_add_f32_e32 v20, v96, v22
	v_dual_add_f32 v22, v135, v24 :: v_dual_add_f32 v11, v74, v13
	v_dual_add_f32 v13, v119, v23 :: v_dual_add_f32 v10, v94, v10
	v_dual_add_f32 v23, v121, v110 :: v_dual_add_f32 v8, v31, v8
	v_add_f32_e32 v44, v123, v112
	v_add_f32_e32 v46, v80, v72
	v_dual_add_f32 v9, v28, v9 :: v_dual_add_f32 v4, v35, v4
	v_dual_add_f32 v13, v127, v13 :: v_dual_add_f32 v6, v6, v16
	v_add_f32_e32 v19, v84, v19
	v_add_f32_e32 v26, v92, v45
	;; [unrolled: 1-line block ×4, first 2 shown]
	v_dual_add_f32 v28, v132, v47 :: v_dual_add_f32 v71, v125, v114
	v_dual_add_f32 v12, v32, v12 :: v_dual_add_f32 v23, v86, v25
	s_delay_alu instid0(VALU_DEP_4) | instskip(NEXT) | instid1(VALU_DEP_3)
	v_dual_add_f32 v24, v97, v26 :: v_dual_add_f32 v7, v7, v15
	v_dual_add_f32 v26, v136, v28 :: v_dual_add_f32 v29, v133, v71
	;; [unrolled: 1-line block ×4, first 2 shown]
	v_add_f32_e32 v15, v99, v19
	v_dual_add_f32 v44, v103, v14 :: v_dual_add_f32 v19, v138, v21
	v_add_f32_e32 v27, v93, v46
	v_add_f32_e32 v9, v34, v9
	v_dual_add_f32 v11, v82, v11 :: v_dual_add_f32 v82, v145, v13
	s_delay_alu instid0(VALU_DEP_4)
	v_add_f32_e32 v84, v146, v19
	v_add_f32_e32 v46, v104, v20
	;; [unrolled: 1-line block ×7, first 2 shown]
	s_delay_alu instid0(VALU_DEP_4) | instskip(NEXT) | instid1(VALU_DEP_4)
	v_dual_add_f32 v85, v36, v8 :: v_dual_add_f32 v78, v147, v23
	v_add_f32_e32 v74, v109, v25
	v_add_f32_e32 v7, v7, v17
	s_delay_alu instid0(VALU_DEP_4) | instskip(SKIP_1) | instid1(VALU_DEP_3)
	v_dual_add_f32 v5, v37, v5 :: v_dual_add_f32 v80, v148, v27
	v_dual_add_f32 v86, v40, v9 :: v_dual_add_f32 v11, v98, v11
	;; [unrolled: 1-line block ×3, first 2 shown]
	v_add_f32_e32 v81, v141, v12
	v_add_f32_e32 v45, v107, v15
	s_delay_alu instid0(VALU_DEP_4)
	v_add_f32_e32 v29, v106, v11
	v_add_f32_e32 v83, v142, v18
	;; [unrolled: 1-line block ×7, first 2 shown]
	v_dual_add_f32 v40, v0, v2 :: v_dual_add_f32 v41, v1, v3
	ds_store_2addr_b64 v91, v[77:78], v[79:80] offset0:4 offset1:5
	ds_store_2addr_b64 v91, v[75:76], v[73:74] offset0:6 offset1:7
	;; [unrolled: 1-line block ×3, first 2 shown]
	ds_store_b64 v91, v[28:29] offset:80
	ds_store_2addr_b64 v91, v[40:41], v[85:86] offset1:1
	ds_store_2addr_b64 v91, v[81:82], v[83:84] offset0:2 offset1:3
	global_wb scope:SCOPE_SE
	s_wait_dscnt 0x0
	s_barrier_signal -1
	s_barrier_wait -1
	global_inv scope:SCOPE_SE
                                        ; implicit-def: $vgpr42
                                        ; implicit-def: $vgpr32
                                        ; implicit-def: $vgpr36
	s_and_saveexec_b32 s0, vcc_lo
	s_cbranch_execz .LBB0_3
; %bb.2:
	ds_load_2addr_b64 v[26:29], v88 offset0:99 offset1:110
	ds_load_2addr_b64 v[0:3], v88 offset0:77 offset1:88
	ds_load_2addr_b64 v[4:7], v88 offset0:55 offset1:66
	ds_load_2addr_b64 v[8:11], v88 offset0:33 offset1:44
	ds_load_2addr_b64 v[12:15], v88 offset0:11 offset1:22
	ds_load_2addr_b64 v[34:37], v88 offset0:121 offset1:132
	ds_load_2addr_b64 v[30:33], v88 offset0:143 offset1:154
	ds_load_b64 v[40:41], v89
	ds_load_b64 v[42:43], v88 offset:1320
	s_wait_dscnt 0x8
	v_dual_mov_b32 v44, v26 :: v_dual_mov_b32 v45, v27
	s_wait_dscnt 0x7
	v_dual_mov_b32 v46, v2 :: v_dual_mov_b32 v47, v3
	v_dual_mov_b32 v73, v0 :: v_dual_mov_b32 v74, v1
	s_wait_dscnt 0x6
	v_dual_mov_b32 v75, v6 :: v_dual_mov_b32 v76, v7
	;; [unrolled: 3-line block ×4, first 2 shown]
	v_dual_mov_b32 v85, v12 :: v_dual_mov_b32 v86, v13
.LBB0_3:
	s_wait_alu 0xfffe
	s_or_b32 exec_lo, exec_lo, s0
	v_add_nc_u32_e32 v0, -11, v87
	s_delay_alu instid0(VALU_DEP_1) | instskip(NEXT) | instid1(VALU_DEP_1)
	v_cndmask_b32_e32 v0, v0, v87, vcc_lo
	v_mul_i32_i24_e32 v1, 0x78, v0
	v_mul_hi_i32_i24_e32 v0, 0x78, v0
	s_delay_alu instid0(VALU_DEP_2) | instskip(SKIP_1) | instid1(VALU_DEP_2)
	v_add_co_u32 v71, s0, s10, v1
	s_wait_alu 0xf1ff
	v_add_co_ci_u32_e64 v72, s0, s11, v0, s0
	s_clause 0x7
	global_load_b128 v[8:11], v[71:72], off
	global_load_b128 v[4:7], v[71:72], off offset:16
	global_load_b128 v[12:15], v[71:72], off offset:32
	;; [unrolled: 1-line block ×6, first 2 shown]
	global_load_b64 v[71:72], v[71:72], off offset:112
	s_wait_loadcnt 0x7
	v_mul_f32_e32 v94, v82, v11
	v_dual_mul_f32 v92, v86, v9 :: v_dual_mul_f32 v95, v81, v11
	v_mul_f32_e32 v93, v85, v9
	s_wait_loadcnt 0x3
	v_mul_f32_e32 v110, v29, v23
	v_dual_mul_f32 v96, v84, v5 :: v_dual_mul_f32 v99, v77, v7
	v_mul_f32_e32 v101, v79, v13
	v_dual_mul_f32 v104, v74, v1 :: v_dual_mul_f32 v111, v28, v23
	s_wait_loadcnt_dscnt 0x102
	v_dual_mul_f32 v117, v30, v25 :: v_dual_mul_f32 v118, v33, v27
	v_fmac_f32_e32 v93, v86, v8
	s_wait_loadcnt_dscnt 0x0
	v_dual_mul_f32 v120, v43, v72 :: v_dual_fmac_f32 v95, v82, v10
	v_fma_f32 v81, v81, v10, -v94
	v_fma_f32 v28, v28, v22, -v110
	v_dual_mul_f32 v98, v78, v7 :: v_dual_mul_f32 v105, v73, v1
	v_dual_mul_f32 v106, v47, v3 :: v_dual_mul_f32 v109, v44, v21
	;; [unrolled: 1-line block ×5, first 2 shown]
	v_dual_fmac_f32 v99, v78, v6 :: v_dual_sub_f32 v28, v81, v28
	v_fma_f32 v73, v73, v0, -v104
	v_fmac_f32_e32 v117, v31, v24
	v_fma_f32 v31, v32, v26, -v118
	v_fma_f32 v32, v42, v71, -v120
	v_dual_mul_f32 v100, v80, v13 :: v_dual_mul_f32 v103, v75, v15
	v_dual_mul_f32 v114, v37, v19 :: v_dual_mul_f32 v121, v42, v72
	v_fma_f32 v85, v85, v8, -v92
	v_fma_f32 v46, v46, v2, -v106
	v_dual_fmac_f32 v107, v47, v2 :: v_dual_sub_f32 v32, v73, v32
	v_fma_f32 v44, v44, v20, -v108
	v_dual_fmac_f32 v115, v37, v18 :: v_dual_mul_f32 v102, v76, v15
	v_mul_f32_e32 v113, v34, v17
	v_fmac_f32_e32 v101, v80, v12
	v_fmac_f32_e32 v119, v33, v26
	v_sub_f32_e32 v33, v40, v46
	v_fmac_f32_e32 v121, v43, v71
	v_sub_f32_e32 v43, v85, v44
	v_fmac_f32_e32 v111, v29, v22
	v_fma_f32 v29, v34, v16, -v112
	v_fma_f32 v34, v36, v18, -v114
	v_dual_sub_f32 v36, v99, v115 :: v_dual_fmac_f32 v103, v76, v14
	v_sub_f32_e32 v44, v101, v117
	v_mul_f32_e32 v97, v83, v5
	v_fma_f32 v77, v77, v6, -v98
	v_fma_f32 v78, v79, v12, -v100
	v_dual_fmac_f32 v105, v74, v0 :: v_dual_sub_f32 v42, v103, v119
	v_fma_f32 v30, v30, v24, -v116
	v_sub_f32_e32 v94, v33, v36
	s_delay_alu instid0(VALU_DEP_3) | instskip(SKIP_4) | instid1(VALU_DEP_4)
	v_dual_fmac_f32 v113, v35, v16 :: v_dual_sub_f32 v46, v105, v121
	v_sub_f32_e32 v35, v41, v107
	v_fma_f32 v82, v83, v4, -v96
	v_dual_fmac_f32 v97, v84, v4 :: v_dual_sub_f32 v34, v77, v34
	v_dual_fmac_f32 v109, v45, v20 :: v_dual_sub_f32 v30, v78, v30
	v_fma_f32 v76, v41, 2.0, -v35
	v_fma_f32 v41, v99, 2.0, -v36
	v_fma_f32 v75, v75, v14, -v102
	v_fma_f32 v74, v40, 2.0, -v33
	v_fma_f32 v40, v77, 2.0, -v34
	;; [unrolled: 1-line block ×4, first 2 shown]
	v_dual_sub_f32 v92, v28, v42 :: v_dual_sub_f32 v47, v97, v113
	v_dual_sub_f32 v98, v43, v44 :: v_dual_sub_f32 v29, v82, v29
	v_sub_f32_e32 v44, v76, v41
	v_add_f32_e32 v34, v35, v34
	v_fma_f32 v83, v85, 2.0, -v43
	v_sub_f32_e32 v45, v93, v109
	v_fma_f32 v85, v97, 2.0, -v47
	v_fma_f32 v86, v105, 2.0, -v46
	v_sub_f32_e32 v31, v75, v31
	v_sub_f32_e32 v99, v29, v46
	;; [unrolled: 1-line block ×3, first 2 shown]
	v_dual_sub_f32 v37, v95, v111 :: v_dual_add_f32 v30, v45, v30
	v_fma_f32 v79, v81, 2.0, -v28
	v_fma_f32 v84, v93, 2.0, -v45
	v_sub_f32_e32 v86, v85, v86
	v_fma_f32 v75, v75, 2.0, -v31
	v_add_f32_e32 v31, v37, v31
	v_fma_f32 v36, v33, 2.0, -v94
	v_fma_f32 v41, v43, 2.0, -v98
	s_delay_alu instid0(VALU_DEP_4)
	v_dual_sub_f32 v96, v46, v86 :: v_dual_sub_f32 v33, v79, v75
	v_fma_f32 v43, v45, 2.0, -v30
	v_dual_sub_f32 v75, v84, v80 :: v_dual_fmamk_f32 v80, v31, 0x3f3504f3, v34
	v_fma_f32 v73, v73, 2.0, -v32
	v_fmamk_f32 v102, v99, 0x3f3504f3, v98
	v_fma_f32 v81, v95, 2.0, -v37
	v_fma_f32 v77, v103, 2.0, -v42
	v_fmac_f32_e32 v80, 0x3f3504f3, v92
	v_add_f32_e32 v32, v47, v32
	v_fma_f32 v82, v82, 2.0, -v29
	v_sub_f32_e32 v42, v74, v40
	v_fma_f32 v40, v35, 2.0, -v34
	v_fma_f32 v28, v28, 2.0, -v92
	;; [unrolled: 1-line block ×3, first 2 shown]
	v_fmac_f32_e32 v102, 0xbf3504f3, v32
	v_fma_f32 v29, v29, 2.0, -v99
	v_fma_f32 v100, v37, 2.0, -v31
	v_fmamk_f32 v37, v92, 0x3f3504f3, v94
	v_fmamk_f32 v103, v32, 0x3f3504f3, v30
	v_fma_f32 v47, v74, 2.0, -v42
	v_fma_f32 v104, v85, 2.0, -v86
	v_fmamk_f32 v92, v101, 0xbf3504f3, v43
	v_fma_f32 v78, v84, 2.0, -v75
	v_sub_f32_e32 v35, v81, v77
	v_fmamk_f32 v84, v29, 0xbf3504f3, v41
	v_fma_f32 v74, v79, 2.0, -v33
	v_fma_f32 v77, v76, 2.0, -v44
	v_sub_f32_e32 v86, v78, v104
	v_fma_f32 v79, v81, 2.0, -v35
	v_sub_f32_e32 v73, v82, v73
	v_dual_fmac_f32 v103, 0x3f3504f3, v99 :: v_dual_fmac_f32 v92, 0x3f3504f3, v29
	v_fma_f32 v98, v98, 2.0, -v102
	v_sub_f32_e32 v81, v47, v74
	v_fma_f32 v76, v83, 2.0, -v46
	v_fma_f32 v83, v82, 2.0, -v73
	v_fmamk_f32 v45, v28, 0xbf3504f3, v36
	v_fmamk_f32 v85, v100, 0xbf3504f3, v40
	v_dual_sub_f32 v93, v42, v35 :: v_dual_fmac_f32 v84, 0xbf3504f3, v101
	v_dual_sub_f32 v82, v77, v79 :: v_dual_add_f32 v97, v75, v73
	v_fma_f32 v99, v30, 2.0, -v103
	v_dual_sub_f32 v30, v81, v86 :: v_dual_fmac_f32 v37, 0xbf3504f3, v31
	v_dual_add_f32 v95, v44, v33 :: v_dual_fmamk_f32 v74, v103, 0x3f6c835e, v80
	v_fmac_f32_e32 v45, 0xbf3504f3, v100
	v_fmac_f32_e32 v85, 0x3f3504f3, v28
	s_delay_alu instid0(VALU_DEP_4)
	v_fma_f32 v79, v94, 2.0, -v37
	v_fma_f32 v94, v34, 2.0, -v80
	v_fmamk_f32 v34, v96, 0x3f3504f3, v93
	v_fmamk_f32 v35, v97, 0x3f3504f3, v95
	;; [unrolled: 1-line block ×3, first 2 shown]
	v_dual_sub_f32 v83, v76, v83 :: v_dual_fmamk_f32 v28, v98, 0xbec3ef15, v79
	v_fmamk_f32 v29, v99, 0xbec3ef15, v94
	v_fmamk_f32 v33, v92, 0x3ec3ef15, v85
	s_delay_alu instid0(VALU_DEP_4)
	v_fmac_f32_e32 v32, 0xbf6c835e, v92
	v_fmac_f32_e32 v34, 0xbf3504f3, v97
	v_fmamk_f32 v73, v102, 0x3f6c835e, v37
	v_dual_add_f32 v31, v82, v83 :: v_dual_fmac_f32 v74, 0x3ec3ef15, v102
	v_fmac_f32_e32 v35, 0x3f3504f3, v96
	v_fmac_f32_e32 v28, 0xbf6c835e, v99
	s_delay_alu instid0(VALU_DEP_4)
	v_fmac_f32_e32 v73, 0xbec3ef15, v103
	v_fmac_f32_e32 v29, 0x3f6c835e, v98
	;; [unrolled: 1-line block ×3, first 2 shown]
	s_and_saveexec_b32 s0, vcc_lo
	s_cbranch_execz .LBB0_5
; %bb.4:
	v_fma_f32 v100, v44, 2.0, -v95
	v_fma_f32 v75, v75, 2.0, -v97
	;; [unrolled: 1-line block ×6, first 2 shown]
	v_fmamk_f32 v95, v75, 0xbf3504f3, v100
	v_fma_f32 v40, v40, 2.0, -v85
	v_fma_f32 v43, v43, 2.0, -v92
	;; [unrolled: 1-line block ×5, first 2 shown]
	v_fmamk_f32 v94, v80, 0xbf3504f3, v101
	v_fma_f32 v77, v77, 2.0, -v82
	v_fma_f32 v78, v78, 2.0, -v86
	v_fmac_f32_e32 v95, 0x3f3504f3, v80
	v_fma_f32 v47, v47, 2.0, -v81
	v_fma_f32 v80, v76, 2.0, -v83
	;; [unrolled: 1-line block ×3, first 2 shown]
	v_dual_sub_f32 v76, v77, v78 :: v_dual_fmamk_f32 v93, v43, 0xbf6c835e, v40
	v_fmamk_f32 v92, v41, 0xbf6c835e, v36
	s_delay_alu instid0(VALU_DEP_4) | instskip(SKIP_1) | instid1(VALU_DEP_4)
	v_dual_fmac_f32 v94, 0xbf3504f3, v75 :: v_dual_sub_f32 v75, v47, v80
	v_fma_f32 v98, v81, 2.0, -v30
	v_fmac_f32_e32 v93, 0x3ec3ef15, v41
	s_delay_alu instid0(VALU_DEP_4)
	v_fmac_f32_e32 v92, 0xbec3ef15, v43
	v_fma_f32 v81, v77, 2.0, -v76
	v_fma_f32 v80, v47, 2.0, -v75
	;; [unrolled: 1-line block ×11, first 2 shown]
	ds_store_b64 v89, v[80:81]
	ds_store_2addr_b64 v88, v[77:78], v[84:85] offset0:11 offset1:22
	ds_store_2addr_b64 v88, v[41:42], v[98:99] offset0:33 offset1:44
	;; [unrolled: 1-line block ×7, first 2 shown]
	ds_store_b64 v88, v[73:74] offset:1320
.LBB0_5:
	s_wait_alu 0xfffe
	s_or_b32 exec_lo, exec_lo, s0
	global_wb scope:SCOPE_SE
	s_wait_dscnt 0x0
	s_barrier_signal -1
	s_barrier_wait -1
	global_inv scope:SCOPE_SE
	global_load_b64 v[36:37], v[38:39], off offset:1408
	s_add_nc_u64 s[0:1], s[8:9], 0x580
	s_clause 0x9
	global_load_b64 v[83:84], v90, s[0:1] offset:128
	global_load_b64 v[85:86], v90, s[0:1] offset:256
	;; [unrolled: 1-line block ×10, first 2 shown]
	ds_load_b64 v[38:39], v89
	s_wait_loadcnt_dscnt 0xa00
	v_mul_f32_e32 v40, v39, v37
	v_mul_f32_e32 v41, v38, v37
	s_delay_alu instid0(VALU_DEP_2) | instskip(NEXT) | instid1(VALU_DEP_2)
	v_fma_f32 v40, v38, v36, -v40
	v_fmac_f32_e32 v41, v39, v36
	ds_store_b64 v89, v[40:41]
	ds_load_2addr_b64 v[36:39], v88 offset0:16 offset1:32
	ds_load_2addr_b64 v[40:43], v88 offset0:48 offset1:64
	;; [unrolled: 1-line block ×5, first 2 shown]
	s_wait_loadcnt_dscnt 0x904
	v_mul_f32_e32 v90, v37, v84
	s_wait_loadcnt 0x8
	v_dual_mul_f32 v108, v36, v84 :: v_dual_mul_f32 v109, v39, v86
	v_mul_f32_e32 v84, v38, v86
	s_wait_loadcnt_dscnt 0x603
	v_dual_mul_f32 v110, v41, v93 :: v_dual_mul_f32 v111, v43, v95
	s_wait_loadcnt_dscnt 0x402
	v_dual_mul_f32 v86, v40, v93 :: v_dual_mul_f32 v113, v47, v99
	v_dual_mul_f32 v93, v42, v95 :: v_dual_mul_f32 v112, v45, v97
	v_dual_mul_f32 v95, v44, v97 :: v_dual_fmac_f32 v108, v37, v83
	s_wait_loadcnt_dscnt 0x301
	v_dual_mul_f32 v97, v46, v99 :: v_dual_mul_f32 v114, v76, v101
	s_wait_loadcnt 0x2
	v_mul_f32_e32 v115, v78, v103
	v_dual_mul_f32 v99, v75, v101 :: v_dual_fmac_f32 v86, v41, v92
	s_wait_loadcnt_dscnt 0x100
	v_dual_mul_f32 v101, v77, v103 :: v_dual_mul_f32 v116, v80, v105
	v_mul_f32_e32 v103, v79, v105
	s_wait_loadcnt 0x0
	v_dual_mul_f32 v117, v82, v107 :: v_dual_fmac_f32 v84, v39, v85
	v_mul_f32_e32 v105, v81, v107
	v_fma_f32 v107, v36, v83, -v90
	v_fma_f32 v83, v38, v85, -v109
	;; [unrolled: 1-line block ×4, first 2 shown]
	v_fmac_f32_e32 v93, v43, v94
	v_fma_f32 v94, v44, v96, -v112
	v_fmac_f32_e32 v95, v45, v96
	v_fma_f32 v96, v46, v98, -v113
	;; [unrolled: 2-line block ×6, first 2 shown]
	v_fmac_f32_e32 v105, v82, v106
	ds_store_2addr_b64 v88, v[107:108], v[83:84] offset0:16 offset1:32
	ds_store_2addr_b64 v88, v[85:86], v[92:93] offset0:48 offset1:64
	;; [unrolled: 1-line block ×5, first 2 shown]
	global_wb scope:SCOPE_SE
	s_wait_dscnt 0x0
	s_barrier_signal -1
	s_barrier_wait -1
	global_inv scope:SCOPE_SE
	ds_load_b64 v[75:76], v89
	ds_load_2addr_b64 v[77:80], v88 offset0:16 offset1:32
	ds_load_2addr_b64 v[36:39], v88 offset0:144 offset1:160
	;; [unrolled: 1-line block ×5, first 2 shown]
	global_wb scope:SCOPE_SE
	s_wait_dscnt 0x0
	s_barrier_signal -1
	s_barrier_wait -1
	global_inv scope:SCOPE_SE
	v_dual_add_f32 v85, v75, v77 :: v_dual_add_f32 v86, v76, v78
	v_add_f32_e32 v92, v39, v78
	v_sub_f32_e32 v78, v78, v39
	v_sub_f32_e32 v108, v45, v47
	v_dual_add_f32 v93, v36, v79 :: v_dual_add_f32 v106, v47, v45
	v_dual_sub_f32 v95, v79, v36 :: v_dual_sub_f32 v96, v80, v37
	v_dual_add_f32 v79, v85, v79 :: v_dual_mul_f32 v114, 0xbf27a4f4, v92
	v_dual_add_f32 v90, v38, v77 :: v_dual_sub_f32 v77, v77, v38
	v_sub_f32_e32 v104, v84, v41
	v_dual_add_f32 v94, v37, v80 :: v_dual_add_f32 v97, v42, v81
	v_add_f32_e32 v98, v43, v82
	v_dual_sub_f32 v99, v81, v42 :: v_dual_add_f32 v80, v86, v80
	v_sub_f32_e32 v100, v82, v43
	v_dual_add_f32 v101, v40, v83 :: v_dual_mul_f32 v110, 0x3ed4b147, v92
	v_dual_sub_f32 v107, v44, v46 :: v_dual_mul_f32 v112, 0xbe11bafb, v92
	v_mul_f32_e32 v86, 0x3f575c64, v92
	v_mul_f32_e32 v85, 0xbf0a6770, v78
	;; [unrolled: 1-line block ×6, first 2 shown]
	v_dual_mul_f32 v92, 0xbf75a155, v92 :: v_dual_add_f32 v79, v79, v81
	v_dual_mul_f32 v115, 0xbf68dda4, v96 :: v_dual_add_f32 v80, v80, v82
	v_mul_f32_e32 v117, 0xbf4178ce, v96
	s_delay_alu instid0(VALU_DEP_3)
	v_dual_mul_f32 v119, 0x3e903f40, v96 :: v_dual_fmamk_f32 v154, v77, 0x3e903f40, v92
	v_dual_mul_f32 v121, 0x3f7d64f0, v96 :: v_dual_fmamk_f32 v150, v77, 0x3f7d64f0, v112
	v_dual_mul_f32 v96, 0x3f0a6770, v96 :: v_dual_add_f32 v79, v79, v83
	v_dual_sub_f32 v103, v83, v40 :: v_dual_mul_f32 v116, 0x3ed4b147, v94
	v_dual_add_f32 v105, v46, v44 :: v_dual_mul_f32 v118, 0xbf27a4f4, v94
	v_dual_mul_f32 v120, 0xbf75a155, v94 :: v_dual_fmamk_f32 v153, v90, 0xbf75a155, v78
	s_delay_alu instid0(VALU_DEP_4)
	v_dual_mul_f32 v130, 0x3f575c64, v98 :: v_dual_fmamk_f32 v161, v93, 0x3f575c64, v96
	v_mul_f32_e32 v131, 0xbf4178ce, v104
	v_mul_f32_e32 v135, 0xbf0a6770, v104
	v_dual_mul_f32 v137, 0xbe903f40, v104 :: v_dual_fmac_f32 v92, 0xbe903f40, v77
	v_dual_mul_f32 v139, 0xbe903f40, v108 :: v_dual_fmamk_f32 v158, v95, 0xbe903f40, v120
	v_dual_mul_f32 v141, 0x3f0a6770, v108 :: v_dual_fmamk_f32 v82, v77, 0x3f0a6770, v86
	v_mul_f32_e32 v143, 0xbf4178ce, v108
	v_mul_f32_e32 v145, 0x3f68dda4, v108
	;; [unrolled: 1-line block ×3, first 2 shown]
	v_dual_mul_f32 v122, 0xbe11bafb, v94 :: v_dual_fmamk_f32 v149, v90, 0xbe11bafb, v111
	v_mul_f32_e32 v133, 0x3f7d64f0, v104
	v_fmac_f32_e32 v86, 0xbf0a6770, v77
	v_dual_mul_f32 v94, 0x3f575c64, v94 :: v_dual_fmamk_f32 v81, v90, 0x3f575c64, v85
	v_mul_f32_e32 v104, 0x3f68dda4, v104
	v_add_f32_e32 v102, v41, v84
	v_dual_mul_f32 v127, 0x3f68dda4, v100 :: v_dual_fmamk_f32 v148, v77, 0x3f68dda4, v110
	v_fma_f32 v85, 0x3f575c64, v90, -v85
	v_fmac_f32_e32 v110, 0xbf68dda4, v77
	v_dual_mul_f32 v128, 0x3ed4b147, v98 :: v_dual_fmamk_f32 v147, v90, 0x3ed4b147, v109
	v_dual_add_f32 v80, v80, v84 :: v_dual_add_f32 v81, v75, v81
	v_dual_fmamk_f32 v177, v101, 0x3ed4b147, v104 :: v_dual_add_f32 v44, v79, v44
	v_dual_mul_f32 v123, 0xbf7d64f0, v100 :: v_dual_fmac_f32 v112, 0xbf7d64f0, v77
	v_dual_mul_f32 v124, 0xbe11bafb, v98 :: v_dual_fmamk_f32 v159, v93, 0xbe11bafb, v121
	v_dual_mul_f32 v125, 0x3e903f40, v100 :: v_dual_fmac_f32 v120, 0x3e903f40, v95
	v_dual_mul_f32 v126, 0xbf75a155, v98 :: v_dual_fmamk_f32 v157, v93, 0xbf75a155, v119
	v_dual_mul_f32 v129, 0xbf0a6770, v100 :: v_dual_fmamk_f32 v162, v95, 0xbf0a6770, v94
	v_mul_f32_e32 v100, 0xbf4178ce, v100
	v_dual_mul_f32 v98, 0xbf27a4f4, v98 :: v_dual_fmamk_f32 v151, v90, 0xbf27a4f4, v113
	v_mul_f32_e32 v134, 0xbe11bafb, v102
	s_delay_alu instid0(VALU_DEP_4)
	v_dual_mul_f32 v136, 0x3f575c64, v102 :: v_dual_fmamk_f32 v167, v97, 0x3f575c64, v129
	v_dual_mul_f32 v138, 0xbf75a155, v102 :: v_dual_fmamk_f32 v163, v97, 0xbf75a155, v125
	;; [unrolled: 1-line block ×5, first 2 shown]
	v_fma_f32 v109, 0x3ed4b147, v90, -v109
	v_fma_f32 v111, 0xbe11bafb, v90, -v111
	v_dual_fmamk_f32 v152, v77, 0x3f4178ce, v114 :: v_dual_add_f32 v83, v75, v85
	v_fma_f32 v113, 0xbf27a4f4, v90, -v113
	v_fmac_f32_e32 v114, 0xbf4178ce, v77
	v_dual_mul_f32 v132, 0xbf27a4f4, v102 :: v_dual_fmamk_f32 v155, v93, 0xbf27a4f4, v117
	v_dual_mul_f32 v102, 0x3ed4b147, v102 :: v_dual_fmamk_f32 v77, v93, 0x3ed4b147, v115
	v_dual_fmamk_f32 v156, v95, 0x3f4178ce, v118 :: v_dual_add_f32 v45, v80, v45
	v_fmamk_f32 v160, v95, 0xbf7d64f0, v122
	s_delay_alu instid0(VALU_DEP_3)
	v_dual_fmac_f32 v122, 0x3f7d64f0, v95 :: v_dual_add_f32 v77, v77, v81
	v_fmamk_f32 v168, v99, 0x3f0a6770, v130
	v_fmac_f32_e32 v130, 0xbf0a6770, v99
	v_dual_mul_f32 v142, 0x3f575c64, v106 :: v_dual_fmamk_f32 v173, v101, 0x3f575c64, v135
	v_dual_mul_f32 v106, 0xbe11bafb, v106 :: v_dual_fmamk_f32 v171, v101, 0xbe11bafb, v133
	v_dual_add_f32 v85, v75, v147 :: v_dual_add_f32 v44, v44, v46
	v_fma_f32 v78, 0xbf75a155, v90, -v78
	v_fmamk_f32 v90, v95, 0x3f68dda4, v116
	v_fma_f32 v115, 0x3ed4b147, v93, -v115
	v_fmac_f32_e32 v116, 0xbf68dda4, v95
	v_fma_f32 v117, 0xbf27a4f4, v93, -v117
	v_fmac_f32_e32 v118, 0xbf4178ce, v95
	v_fma_f32 v119, 0xbf75a155, v93, -v119
	v_fma_f32 v121, 0xbe11bafb, v93, -v121
	;; [unrolled: 1-line block ×3, first 2 shown]
	v_fmac_f32_e32 v94, 0x3f0a6770, v95
	v_fmamk_f32 v95, v97, 0xbe11bafb, v123
	v_fmamk_f32 v96, v99, 0x3f7d64f0, v124
	v_fma_f32 v123, 0xbe11bafb, v97, -v123
	v_dual_fmac_f32 v124, 0xbf7d64f0, v99 :: v_dual_add_f32 v113, v75, v113
	v_fmamk_f32 v164, v99, 0xbe903f40, v126
	v_fma_f32 v125, 0xbf75a155, v97, -v125
	v_fmac_f32_e32 v126, 0x3e903f40, v99
	v_fmamk_f32 v166, v99, 0xbf68dda4, v128
	v_fma_f32 v127, 0x3ed4b147, v97, -v127
	v_fmac_f32_e32 v128, 0x3f68dda4, v99
	v_fma_f32 v129, 0x3f575c64, v97, -v129
	v_fmamk_f32 v170, v99, 0x3f4178ce, v98
	v_fma_f32 v97, 0xbf27a4f4, v97, -v100
	v_fmac_f32_e32 v98, 0xbf4178ce, v99
	v_dual_fmamk_f32 v99, v101, 0xbf27a4f4, v131 :: v_dual_add_f32 v82, v76, v82
	v_dual_fmamk_f32 v100, v103, 0x3f4178ce, v132 :: v_dual_add_f32 v45, v45, v47
	v_fma_f32 v131, 0xbf27a4f4, v101, -v131
	v_dual_fmac_f32 v132, 0xbf4178ce, v103 :: v_dual_add_f32 v81, v155, v85
	v_fma_f32 v133, 0xbe11bafb, v101, -v133
	v_fma_f32 v135, 0x3f575c64, v101, -v135
	;; [unrolled: 1-line block ×4, first 2 shown]
	v_fmamk_f32 v104, v107, 0x3e903f40, v140
	v_fmac_f32_e32 v140, 0xbe903f40, v107
	v_fmamk_f32 v180, v107, 0xbf0a6770, v142
	v_fmac_f32_e32 v142, 0x3f0a6770, v107
	;; [unrolled: 2-line block ×4, first 2 shown]
	v_fmamk_f32 v186, v107, 0x3f7d64f0, v106
	v_dual_add_f32 v111, v75, v111 :: v_dual_add_f32 v114, v76, v114
	v_add_f32_e32 v40, v44, v40
	v_dual_fmac_f32 v106, 0xbf7d64f0, v107 :: v_dual_add_f32 v107, v75, v109
	v_add_f32_e32 v109, v75, v149
	v_dual_add_f32 v149, v75, v153 :: v_dual_add_f32 v84, v76, v86
	v_add_f32_e32 v147, v75, v151
	v_add_f32_e32 v75, v75, v78
	v_dual_add_f32 v78, v90, v82 :: v_dual_add_f32 v79, v115, v83
	v_dual_add_f32 v83, v117, v107 :: v_dual_fmamk_f32 v172, v103, 0xbf7d64f0, v134
	v_fmac_f32_e32 v134, 0x3f7d64f0, v103
	v_dual_fmamk_f32 v174, v103, 0x3f0a6770, v136 :: v_dual_add_f32 v85, v157, v109
	v_fmac_f32_e32 v136, 0xbf0a6770, v103
	v_dual_add_f32 v90, v119, v111 :: v_dual_add_f32 v109, v121, v113
	v_fmamk_f32 v176, v103, 0x3e903f40, v138
	v_dual_fmac_f32 v138, 0xbe903f40, v103 :: v_dual_add_f32 v111, v161, v149
	v_fmamk_f32 v178, v103, 0xbf68dda4, v102
	v_dual_fmac_f32 v102, 0x3f68dda4, v103 :: v_dual_add_f32 v41, v45, v41
	v_dual_fmamk_f32 v103, v105, 0xbf75a155, v139 :: v_dual_add_f32 v80, v116, v84
	v_fma_f32 v139, 0xbf75a155, v105, -v139
	v_dual_fmamk_f32 v179, v105, 0x3f575c64, v141 :: v_dual_add_f32 v86, v76, v148
	s_delay_alu instid0(VALU_DEP_4)
	v_add_f32_e32 v43, v41, v43
	v_fma_f32 v141, 0x3f575c64, v105, -v141
	v_fmamk_f32 v181, v105, 0xbf27a4f4, v143
	v_fma_f32 v143, 0xbf27a4f4, v105, -v143
	v_fmamk_f32 v183, v105, 0x3ed4b147, v145
	v_fma_f32 v145, 0x3ed4b147, v105, -v145
	v_dual_fmamk_f32 v185, v105, 0xbe11bafb, v108 :: v_dual_add_f32 v112, v76, v112
	v_fma_f32 v105, 0xbe11bafb, v105, -v108
	v_add_f32_e32 v108, v76, v110
	v_dual_add_f32 v46, v95, v77 :: v_dual_add_f32 v47, v96, v78
	v_add_f32_e32 v77, v123, v79
	v_dual_add_f32 v37, v43, v37 :: v_dual_add_f32 v78, v124, v80
	v_dual_add_f32 v79, v163, v81 :: v_dual_add_f32 v82, v156, v86
	s_delay_alu instid0(VALU_DEP_4) | instskip(NEXT) | instid1(VALU_DEP_3)
	v_add_f32_e32 v45, v100, v47
	v_add_f32_e32 v37, v37, v39
	s_delay_alu instid0(VALU_DEP_4) | instskip(SKIP_2) | instid1(VALU_DEP_3)
	v_dual_add_f32 v47, v132, v78 :: v_dual_add_f32 v84, v118, v108
	v_add_f32_e32 v110, v76, v150
	v_dual_add_f32 v148, v76, v152 :: v_dual_add_f32 v81, v125, v83
	v_add_f32_e32 v41, v140, v47
	;; [unrolled: 2-line block ×4, first 2 shown]
	v_add_f32_e32 v150, v76, v154
	v_dual_add_f32 v76, v76, v92 :: v_dual_add_f32 v107, v159, v147
	v_add_f32_e32 v86, v158, v110
	v_add_f32_e32 v92, v120, v112
	v_dual_add_f32 v78, v172, v80 :: v_dual_add_f32 v79, v133, v81
	v_dual_add_f32 v80, v134, v82 :: v_dual_add_f32 v81, v173, v83
	;; [unrolled: 1-line block ×4, first 2 shown]
	s_delay_alu instid0(VALU_DEP_3) | instskip(NEXT) | instid1(VALU_DEP_3)
	v_dual_add_f32 v81, v181, v81 :: v_dual_add_f32 v86, v128, v92
	v_dual_add_f32 v92, v168, v108 :: v_dual_add_f32 v93, v129, v109
	v_add_f32_e32 v47, v142, v80
	v_add_f32_e32 v85, v127, v90
	;; [unrolled: 1-line block ×3, first 2 shown]
	v_dual_add_f32 v112, v162, v150 :: v_dual_add_f32 v75, v97, v75
	v_add_f32_e32 v97, v136, v86
	s_delay_alu instid0(VALU_DEP_3)
	v_dual_add_f32 v95, v169, v111 :: v_dual_add_f32 v86, v175, v90
	v_add_f32_e32 v90, v176, v92
	v_add_f32_e32 v76, v94, v76
	;; [unrolled: 1-line block ×4, first 2 shown]
	v_dual_add_f32 v96, v170, v112 :: v_dual_add_f32 v99, v40, v42
	s_delay_alu instid0(VALU_DEP_4)
	v_add_f32_e32 v76, v98, v76
	v_add_f32_e32 v40, v139, v46
	;; [unrolled: 1-line block ×3, first 2 shown]
	v_dual_add_f32 v79, v145, v92 :: v_dual_add_f32 v94, v130, v110
	v_dual_add_f32 v82, v174, v84 :: v_dual_add_f32 v85, v135, v85
	v_add_f32_e32 v98, v102, v76
	s_delay_alu instid0(VALU_DEP_3)
	v_dual_add_f32 v36, v99, v36 :: v_dual_add_f32 v93, v138, v94
	v_dual_add_f32 v94, v177, v95 :: v_dual_add_f32 v95, v178, v96
	;; [unrolled: 1-line block ×3, first 2 shown]
	v_add_f32_e32 v76, v104, v45
	v_add_f32_e32 v84, v180, v78
	;; [unrolled: 1-line block ×5, first 2 shown]
	v_dual_add_f32 v45, v184, v90 :: v_dual_add_f32 v80, v146, v93
	v_dual_add_f32 v77, v185, v94 :: v_dual_add_f32 v78, v186, v95
	;; [unrolled: 1-line block ×3, first 2 shown]
	v_add_f32_e32 v43, v144, v97
	v_add_f32_e32 v36, v36, v38
	ds_store_2addr_b64 v91, v[44:45], v[77:78] offset0:4 offset1:5
	ds_store_2addr_b64 v91, v[85:86], v[79:80] offset0:6 offset1:7
	;; [unrolled: 1-line block ×3, first 2 shown]
	ds_store_b64 v91, v[40:41] offset:80
	ds_store_2addr_b64 v91, v[83:84], v[81:82] offset0:2 offset1:3
	ds_store_2addr_b64 v91, v[36:37], v[75:76] offset1:1
	global_wb scope:SCOPE_SE
	s_wait_dscnt 0x0
	s_barrier_signal -1
	s_barrier_wait -1
	global_inv scope:SCOPE_SE
	s_and_saveexec_b32 s0, vcc_lo
	s_cbranch_execz .LBB0_7
; %bb.6:
	ds_load_2addr_b64 v[38:41], v88 offset0:99 offset1:110
	ds_load_2addr_b64 v[75:78], v88 offset0:77 offset1:88
	;; [unrolled: 1-line block ×7, first 2 shown]
	ds_load_b64 v[36:37], v89
	ds_load_b64 v[73:74], v88 offset:1320
	s_wait_dscnt 0x8
	v_dual_mov_b32 v46, v38 :: v_dual_mov_b32 v47, v39
	s_wait_dscnt 0x7
	v_dual_mov_b32 v42, v77 :: v_dual_mov_b32 v43, v78
	v_dual_mov_b32 v79, v75 :: v_dual_mov_b32 v80, v76
	s_wait_dscnt 0x6
	v_dual_mov_b32 v85, v83 :: v_dual_mov_b32 v86, v84
	;; [unrolled: 3-line block ×4, first 2 shown]
	v_dual_mov_b32 v75, v94 :: v_dual_mov_b32 v76, v95
.LBB0_7:
	s_wait_alu 0xfffe
	s_or_b32 exec_lo, exec_lo, s0
	s_and_saveexec_b32 s0, vcc_lo
	s_cbranch_execz .LBB0_9
; %bb.8:
	s_wait_dscnt 0x3
	v_mul_f32_e32 v94, v19, v31
	s_wait_dscnt 0x2
	v_mul_f32_e32 v91, v27, v35
	v_mul_f32_e32 v19, v19, v30
	s_delay_alu instid0(VALU_DEP_3) | instskip(NEXT) | instid1(VALU_DEP_3)
	v_fmac_f32_e32 v94, v18, v30
	v_dual_mul_f32 v38, v11, v83 :: v_dual_fmac_f32 v91, v26, v34
	v_mul_f32_e32 v11, v11, v84
	s_delay_alu instid0(VALU_DEP_2) | instskip(SKIP_4) | instid1(VALU_DEP_4)
	v_fma_f32 v38, v10, v84, -v38
	v_mul_f32_e32 v90, v15, v86
	v_mul_f32_e32 v39, v23, v40
	;; [unrolled: 1-line block ×3, first 2 shown]
	v_dual_fmac_f32 v11, v10, v83 :: v_dual_mul_f32 v10, v23, v41
	v_fmac_f32_e32 v90, v14, v85
	v_mul_f32_e32 v92, v3, v42
	v_fma_f32 v39, v22, v41, -v39
	s_delay_alu instid0(VALU_DEP_4) | instskip(NEXT) | instid1(VALU_DEP_4)
	v_dual_mul_f32 v27, v27, v34 :: v_dual_fmac_f32 v10, v22, v40
	v_sub_f32_e32 v91, v90, v91
	s_delay_alu instid0(VALU_DEP_4)
	v_fma_f32 v92, v2, v43, -v92
	v_mul_f32_e32 v93, v7, v45
	v_sub_f32_e32 v39, v38, v39
	v_fma_f32 v14, v14, v86, -v15
	v_fma_f32 v15, v26, v35, -v27
	s_wait_dscnt 0x1
	v_sub_f32_e32 v34, v37, v92
	v_fmac_f32_e32 v93, v6, v44
	v_dual_sub_f32 v95, v39, v91 :: v_dual_mul_f32 v26, v17, v28
	v_mul_f32_e32 v7, v7, v44
	s_delay_alu instid0(VALU_DEP_3)
	v_dual_mul_f32 v3, v3, v43 :: v_dual_sub_f32 v84, v93, v94
	v_mul_f32_e32 v23, v5, v81
	v_mul_f32_e32 v40, v9, v75
	;; [unrolled: 1-line block ×4, first 2 shown]
	v_fma_f32 v6, v6, v45, -v7
	v_fma_f32 v22, v4, v82, -v23
	;; [unrolled: 1-line block ×3, first 2 shown]
	v_dual_sub_f32 v26, v34, v84 :: v_dual_mul_f32 v83, v13, v78
	v_fma_f32 v7, v18, v31, -v19
	v_fmac_f32_e32 v3, v2, v42
	v_fma_f32 v40, v8, v76, -v40
	v_fma_f32 v41, v20, v47, -v41
	v_mul_f32_e32 v5, v5, v82
	v_dual_fmac_f32 v21, v20, v46 :: v_dual_fmamk_f32 v20, v95, 0x3f3504f3, v26
	v_dual_fmac_f32 v83, v12, v77 :: v_dual_sub_f32 v2, v6, v7
	v_sub_f32_e32 v7, v36, v3
	s_wait_dscnt 0x0
	v_mul_f32_e32 v35, v72, v74
	v_sub_f32_e32 v41, v40, v41
	v_mul_f32_e32 v13, v13, v77
	v_dual_mul_f32 v9, v9, v76 :: v_dual_add_f32 v18, v2, v7
	v_fma_f32 v19, v37, 2.0, -v34
	v_fma_f32 v2, v6, 2.0, -v2
	v_fmac_f32_e32 v5, v4, v81
	v_mul_f32_e32 v4, v17, v29
	v_mul_f32_e32 v17, v25, v32
	v_dual_mul_f32 v27, v1, v80 :: v_dual_sub_f32 v10, v11, v10
	v_dual_sub_f32 v15, v14, v15 :: v_dual_mul_f32 v72, v72, v73
	v_mul_f32_e32 v85, v25, v33
	v_fma_f32 v12, v12, v78, -v13
	v_fma_f32 v13, v24, v33, -v17
	v_fmac_f32_e32 v9, v8, v75
	v_fma_f32 v45, v7, 2.0, -v18
	v_dual_fmac_f32 v35, v71, v73 :: v_dual_fmac_f32 v4, v16, v28
	s_delay_alu instid0(VALU_DEP_4) | instskip(NEXT) | instid1(VALU_DEP_4)
	v_sub_f32_e32 v13, v12, v13
	v_sub_f32_e32 v17, v9, v21
	v_fmac_f32_e32 v85, v24, v32
	v_add_f32_e32 v21, v15, v10
	v_dual_mul_f32 v1, v1, v79 :: v_dual_sub_f32 v2, v19, v2
	s_delay_alu instid0(VALU_DEP_4) | instskip(NEXT) | instid1(VALU_DEP_3)
	v_add_f32_e32 v28, v13, v17
	v_dual_sub_f32 v73, v83, v85 :: v_dual_fmamk_f32 v32, v21, 0x3f3504f3, v18
	v_dual_fmac_f32 v27, v0, v79 :: v_dual_fmac_f32 v20, 0xbf3504f3, v21
	s_delay_alu instid0(VALU_DEP_4) | instskip(NEXT) | instid1(VALU_DEP_3)
	v_fma_f32 v0, v0, v80, -v1
	v_sub_f32_e32 v16, v41, v73
	v_fma_f32 v1, v71, v74, -v72
	v_sub_f32_e32 v23, v22, v23
	v_dual_sub_f32 v35, v27, v35 :: v_dual_sub_f32 v4, v5, v4
	v_fma_f32 v30, v11, 2.0, -v10
	s_delay_alu instid0(VALU_DEP_4) | instskip(SKIP_3) | instid1(VALU_DEP_4)
	v_sub_f32_e32 v8, v0, v1
	v_fma_f32 v6, v90, 2.0, -v91
	v_fma_f32 v22, v22, 2.0, -v23
	v_fmac_f32_e32 v32, 0x3f3504f3, v95
	v_dual_sub_f32 v86, v23, v35 :: v_dual_add_f32 v25, v8, v4
	v_fma_f32 v0, v0, 2.0, -v8
	v_fma_f32 v11, v12, 2.0, -v13
	v_sub_f32_e32 v13, v30, v6
	v_fma_f32 v38, v38, 2.0, -v39
	v_fma_f32 v34, v34, 2.0, -v26
	v_sub_f32_e32 v42, v22, v0
	v_fma_f32 v0, v14, 2.0, -v15
	v_fma_f32 v6, v39, 2.0, -v95
	;; [unrolled: 1-line block ×3, first 2 shown]
	v_fmamk_f32 v29, v25, 0x3f3504f3, v28
	v_fma_f32 v31, v40, 2.0, -v41
	v_sub_f32_e32 v15, v38, v0
	v_fmamk_f32 v39, v6, 0xbf3504f3, v34
	v_fma_f32 v0, v10, 2.0, -v21
	v_fmac_f32_e32 v29, 0x3f3504f3, v86
	v_fma_f32 v12, v5, 2.0, -v4
	v_fma_f32 v14, v36, 2.0, -v7
	;; [unrolled: 1-line block ×5, first 2 shown]
	v_fmac_f32_e32 v39, 0xbf3504f3, v0
	v_fmamk_f32 v46, v0, 0xbf3504f3, v45
	v_fmamk_f32 v0, v29, 0x3f6c835e, v32
	v_fma_f32 v4, v4, 2.0, -v25
	v_fma_f32 v5, v27, 2.0, -v35
	v_fmamk_f32 v10, v8, 0xbf3504f3, v36
	v_fmac_f32_e32 v46, 0x3f3504f3, v6
	v_fmamk_f32 v24, v86, 0x3f3504f3, v16
	v_fmamk_f32 v44, v4, 0xbf3504f3, v41
	v_sub_f32_e32 v33, v12, v5
	v_fma_f32 v5, v83, 2.0, -v73
	v_fmac_f32_e32 v10, 0xbf3504f3, v4
	v_fma_f32 v35, v9, 2.0, -v17
	v_fmac_f32_e32 v44, 0x3f3504f3, v8
	v_dual_fmac_f32 v24, 0xbf3504f3, v25 :: v_dual_sub_f32 v27, v31, v11
	s_delay_alu instid0(VALU_DEP_4) | instskip(NEXT) | instid1(VALU_DEP_4)
	v_fmamk_f32 v7, v10, 0x3ec3ef15, v39
	v_sub_f32_e32 v43, v35, v5
	v_fma_f32 v5, v93, 2.0, -v84
	v_dual_fmamk_f32 v6, v44, 0x3ec3ef15, v46 :: v_dual_sub_f32 v37, v2, v13
	v_sub_f32_e32 v40, v27, v33
	v_fma_f32 v12, v12, 2.0, -v33
	v_fma_f32 v13, v30, 2.0, -v13
	s_delay_alu instid0(VALU_DEP_4)
	v_fmac_f32_e32 v6, 0x3f6c835e, v10
	v_fma_f32 v10, v36, 2.0, -v10
	v_sub_f32_e32 v23, v14, v5
	v_fma_f32 v30, v31, 2.0, -v27
	v_add_f32_e32 v21, v42, v43
	v_fma_f32 v35, v35, 2.0, -v43
	v_fmamk_f32 v5, v40, 0x3f3504f3, v37
	v_fma_f32 v33, v14, 2.0, -v23
	v_fmamk_f32 v1, v24, 0x3f6c835e, v20
	v_fma_f32 v14, v22, 2.0, -v42
	v_add_f32_e32 v25, v15, v23
	v_fma_f32 v15, v38, 2.0, -v15
	v_sub_f32_e32 v38, v33, v13
	s_delay_alu instid0(VALU_DEP_4) | instskip(SKIP_3) | instid1(VALU_DEP_4)
	v_dual_fmac_f32 v1, 0xbec3ef15, v29 :: v_dual_sub_f32 v42, v30, v14
	v_sub_f32_e32 v31, v35, v12
	v_fma_f32 v16, v16, 2.0, -v24
	v_fma_f32 v2, v2, 2.0, -v37
	;; [unrolled: 1-line block ×4, first 2 shown]
	v_add_f32_e32 v12, v38, v42
	v_fma_f32 v26, v27, 2.0, -v40
	v_fmac_f32_e32 v5, 0xbf3504f3, v21
	v_fmac_f32_e32 v0, 0x3ec3ef15, v24
	v_dual_sub_f32 v22, v47, v15 :: v_dual_fmamk_f32 v15, v16, 0xbec3ef15, v20
	v_fma_f32 v14, v28, 2.0, -v29
	v_fmamk_f32 v17, v26, 0xbf3504f3, v2
	v_fma_f32 v24, v43, 2.0, -v21
	v_fma_f32 v9, v37, 2.0, -v5
	;; [unrolled: 1-line block ×3, first 2 shown]
	v_fmamk_f32 v4, v21, 0x3f3504f3, v25
	v_fmac_f32_e32 v15, 0xbf6c835e, v14
	v_fmac_f32_e32 v17, 0xbf3504f3, v24
	v_sub_f32_e32 v13, v22, v31
	v_fmamk_f32 v14, v14, 0xbec3ef15, v37
	v_fma_f32 v28, v23, 2.0, -v25
	v_fmac_f32_e32 v4, 0x3f3504f3, v40
	v_fma_f32 v29, v34, 2.0, -v39
	v_fma_f32 v21, v20, 2.0, -v15
	;; [unrolled: 1-line block ×6, first 2 shown]
	v_fmac_f32_e32 v14, 0x3f6c835e, v16
	v_fmamk_f32 v16, v24, 0xbf3504f3, v28
	v_fma_f32 v34, v47, 2.0, -v22
	v_fma_f32 v22, v30, 2.0, -v42
	;; [unrolled: 1-line block ×5, first 2 shown]
	v_fmamk_f32 v25, v10, 0xbf6c835e, v29
	v_fmamk_f32 v24, v2, 0xbf6c835e, v20
	v_fmac_f32_e32 v16, 0x3f3504f3, v26
	v_sub_f32_e32 v27, v34, v22
	s_delay_alu instid0(VALU_DEP_4) | instskip(NEXT) | instid1(VALU_DEP_4)
	v_dual_sub_f32 v26, v30, v31 :: v_dual_fmac_f32 v25, 0xbec3ef15, v2
	v_fmac_f32_e32 v24, 0x3ec3ef15, v10
	v_fmac_f32_e32 v7, 0xbf6c835e, v44
	s_delay_alu instid0(VALU_DEP_4) | instskip(NEXT) | instid1(VALU_DEP_4)
	v_fma_f32 v31, v34, 2.0, -v27
	v_fma_f32 v30, v30, 2.0, -v26
	;; [unrolled: 1-line block ×10, first 2 shown]
	ds_store_b64 v89, v[30:31]
	ds_store_2addr_b64 v88, v[28:29], v[22:23] offset0:11 offset1:22
	ds_store_2addr_b64 v88, v[20:21], v[18:19] offset0:33 offset1:44
	;; [unrolled: 1-line block ×7, first 2 shown]
	ds_store_b64 v88, v[0:1] offset:1320
.LBB0_9:
	s_wait_alu 0xfffe
	s_or_b32 exec_lo, exec_lo, s0
	global_wb scope:SCOPE_SE
	s_wait_dscnt 0x0
	s_barrier_signal -1
	s_barrier_wait -1
	global_inv scope:SCOPE_SE
	ds_load_b64 v[20:21], v89
	ds_load_2addr_b64 v[0:3], v88 offset0:16 offset1:32
	ds_load_2addr_b64 v[4:7], v88 offset0:48 offset1:64
	s_mov_b32 s0, 0x745d1746
	s_mov_b32 s1, 0x3f7745d1
	ds_load_2addr_b64 v[8:11], v88 offset0:80 offset1:96
	ds_load_2addr_b64 v[12:15], v88 offset0:112 offset1:128
	;; [unrolled: 1-line block ×3, first 2 shown]
	v_mad_co_u64_u32 v[22:23], null, s6, v48, 0
	v_mad_co_u64_u32 v[24:25], null, s4, v87, 0
	s_wait_dscnt 0x4
	v_dual_mul_f32 v26, v50, v21 :: v_dual_mul_f32 v29, v52, v0
	v_dual_mul_f32 v27, v50, v20 :: v_dual_mul_f32 v28, v52, v1
	s_delay_alu instid0(VALU_DEP_2) | instskip(SKIP_2) | instid1(VALU_DEP_3)
	v_dual_mul_f32 v31, v54, v2 :: v_dual_fmac_f32 v26, v49, v20
	s_wait_dscnt 0x3
	v_dual_mul_f32 v30, v54, v3 :: v_dual_mul_f32 v33, v56, v4
	v_fma_f32 v27, v49, v21, -v27
	s_wait_dscnt 0x0
	v_dual_fmac_f32 v28, v51, v0 :: v_dual_mul_f32 v47, v70, v18
	v_cvt_f64_f32_e32 v[20:21], v26
	v_fma_f32 v29, v51, v1, -v29
	v_cvt_f64_f32_e32 v[26:27], v27
	v_fmac_f32_e32 v30, v53, v2
	v_fma_f32 v31, v53, v3, -v31
	v_cvt_f64_f32_e32 v[0:1], v28
	v_cvt_f64_f32_e32 v[2:3], v29
	v_dual_mul_f32 v32, v56, v5 :: v_dual_mul_f32 v35, v58, v6
	v_dual_mul_f32 v34, v58, v7 :: v_dual_mul_f32 v39, v64, v10
	v_mad_co_u64_u32 v[48:49], null, s7, v48, v[23:24]
	v_dual_mul_f32 v41, v66, v12 :: v_dual_mul_f32 v42, v60, v15
	v_fma_f32 v33, v55, v5, -v33
	s_delay_alu instid0(VALU_DEP_4)
	v_fmac_f32_e32 v34, v57, v6
	v_fma_f32 v35, v57, v7, -v35
	v_cvt_f64_f32_e32 v[6:7], v31
	v_dual_mul_f32 v36, v62, v9 :: v_dual_mul_f32 v45, v68, v16
	v_dual_mul_f32 v37, v62, v8 :: v_dual_mul_f32 v38, v64, v11
	v_dual_mul_f32 v40, v66, v13 :: v_dual_mov_b32 v23, v48
	v_fmac_f32_e32 v42, v59, v14
	v_mul_f32_e32 v14, v60, v14
	v_mul_f32_e32 v44, v68, v17
	;; [unrolled: 1-line block ×3, first 2 shown]
	v_fmac_f32_e32 v36, v61, v8
	v_fma_f32 v37, v61, v9, -v37
	v_fmac_f32_e32 v38, v63, v10
	v_fma_f32 v39, v63, v11, -v39
	v_fmac_f32_e32 v40, v65, v12
	v_fma_f32 v41, v65, v13, -v41
	v_cvt_f64_f32_e32 v[10:11], v33
	v_fma_f32 v14, v59, v15, -v14
	v_fmac_f32_e32 v44, v67, v16
	v_fma_f32 v45, v67, v17, -v45
	v_fmac_f32_e32 v46, v69, v18
	s_wait_alu 0xfffe
	v_mul_f64_e32 v[26:27], s[0:1], v[26:27]
	v_fma_f32 v47, v69, v19, -v47
	v_cvt_f64_f32_e32 v[12:13], v34
	v_cvt_f64_f32_e32 v[28:29], v35
	;; [unrolled: 1-line block ×9, first 2 shown]
	v_mul_f64_e32 v[20:21], s[0:1], v[20:21]
	v_mul_f64_e32 v[0:1], s[0:1], v[0:1]
	;; [unrolled: 1-line block ×3, first 2 shown]
	v_lshlrev_b64_e32 v[22:23], 3, v[22:23]
	v_mul_f64_e32 v[6:7], s[0:1], v[6:7]
	s_delay_alu instid0(VALU_DEP_2)
	v_add_co_u32 v48, vcc_lo, s2, v22
	v_mul_f64_e32 v[10:11], s[0:1], v[10:11]
	v_mad_co_u64_u32 v[49:50], null, s5, v87, v[25:26]
	v_fmac_f32_e32 v32, v55, v4
	v_cvt_f64_f32_e32 v[4:5], v30
	v_cvt_f64_f32_e32 v[30:31], v36
	v_mul_f64_e32 v[12:13], s[0:1], v[12:13]
	v_mul_f64_e32 v[28:29], s[0:1], v[28:29]
	;; [unrolled: 1-line block ×3, first 2 shown]
	v_mov_b32_e32 v25, v49
	v_cvt_f64_f32_e32 v[8:9], v32
	v_cvt_f64_f32_e32 v[32:33], v37
	;; [unrolled: 1-line block ×5, first 2 shown]
	s_wait_alu 0xfffd
	v_add_co_ci_u32_e32 v49, vcc_lo, s3, v23, vcc_lo
	v_mul_f64_e32 v[16:17], s[0:1], v[16:17]
	v_mul_f64_e32 v[18:19], s[0:1], v[18:19]
	v_cvt_f32_f64_e32 v20, v[20:21]
	v_cvt_f32_f64_e32 v21, v[26:27]
	v_cvt_f32_f64_e32 v0, v[0:1]
	v_cvt_f32_f64_e32 v1, v[2:3]
	v_lshlrev_b64_e32 v[24:25], 3, v[24:25]
	s_delay_alu instid0(VALU_DEP_1) | instskip(SKIP_1) | instid1(VALU_DEP_2)
	v_add_co_u32 v24, vcc_lo, v48, v24
	s_wait_alu 0xfffd
	v_add_co_ci_u32_e32 v25, vcc_lo, v49, v25, vcc_lo
	v_mul_f64_e32 v[4:5], s[0:1], v[4:5]
	v_mul_f64_e32 v[22:23], s[0:1], v[30:31]
	;; [unrolled: 1-line block ×11, first 2 shown]
	s_lshl_b64 s[0:1], s[4:5], 7
	global_store_b64 v[24:25], v[20:21], off
	s_wait_alu 0xfffe
	v_add_co_u32 v2, vcc_lo, v24, s0
	s_wait_alu 0xfffd
	v_add_co_ci_u32_e32 v3, vcc_lo, s1, v25, vcc_lo
	global_store_b64 v[2:3], v[0:1], off
	v_cvt_f32_f64_e32 v4, v[4:5]
	v_cvt_f32_f64_e32 v5, v[6:7]
	v_add_co_u32 v6, vcc_lo, v2, s0
	s_wait_alu 0xfffd
	v_add_co_ci_u32_e32 v7, vcc_lo, s1, v3, vcc_lo
	v_cvt_f32_f64_e32 v8, v[8:9]
	v_cvt_f32_f64_e32 v9, v[10:11]
	;; [unrolled: 1-line block ×4, first 2 shown]
	v_add_co_u32 v12, vcc_lo, v6, s0
	v_cvt_f32_f64_e32 v22, v[22:23]
	v_cvt_f32_f64_e32 v23, v[30:31]
	;; [unrolled: 1-line block ×6, first 2 shown]
	s_wait_alu 0xfffd
	v_add_co_ci_u32_e32 v13, vcc_lo, s1, v7, vcc_lo
	v_cvt_f32_f64_e32 v30, v[40:41]
	v_cvt_f32_f64_e32 v31, v[14:15]
	;; [unrolled: 1-line block ×6, first 2 shown]
	v_add_co_u32 v18, vcc_lo, v12, s0
	s_wait_alu 0xfffd
	v_add_co_ci_u32_e32 v19, vcc_lo, s1, v13, vcc_lo
	s_delay_alu instid0(VALU_DEP_2) | instskip(SKIP_1) | instid1(VALU_DEP_2)
	v_add_co_u32 v20, vcc_lo, v18, s0
	s_wait_alu 0xfffd
	v_add_co_ci_u32_e32 v21, vcc_lo, s1, v19, vcc_lo
	s_delay_alu instid0(VALU_DEP_2) | instskip(SKIP_1) | instid1(VALU_DEP_2)
	v_add_co_u32 v0, vcc_lo, v20, s0
	s_wait_alu 0xfffd
	v_add_co_ci_u32_e32 v1, vcc_lo, s1, v21, vcc_lo
	global_store_b64 v[6:7], v[4:5], off
	v_add_co_u32 v2, vcc_lo, v0, s0
	s_wait_alu 0xfffd
	v_add_co_ci_u32_e32 v3, vcc_lo, s1, v1, vcc_lo
	global_store_b64 v[12:13], v[8:9], off
	;; [unrolled: 4-line block ×5, first 2 shown]
	global_store_b64 v[2:3], v[28:29], off
	global_store_b64 v[4:5], v[30:31], off
	;; [unrolled: 1-line block ×4, first 2 shown]
.LBB0_10:
	s_nop 0
	s_sendmsg sendmsg(MSG_DEALLOC_VGPRS)
	s_endpgm
	.section	.rodata,"a",@progbits
	.p2align	6, 0x0
	.amdhsa_kernel bluestein_single_fwd_len176_dim1_sp_op_CI_CI
		.amdhsa_group_segment_fixed_size 5632
		.amdhsa_private_segment_fixed_size 0
		.amdhsa_kernarg_size 104
		.amdhsa_user_sgpr_count 2
		.amdhsa_user_sgpr_dispatch_ptr 0
		.amdhsa_user_sgpr_queue_ptr 0
		.amdhsa_user_sgpr_kernarg_segment_ptr 1
		.amdhsa_user_sgpr_dispatch_id 0
		.amdhsa_user_sgpr_private_segment_size 0
		.amdhsa_wavefront_size32 1
		.amdhsa_uses_dynamic_stack 0
		.amdhsa_enable_private_segment 0
		.amdhsa_system_sgpr_workgroup_id_x 1
		.amdhsa_system_sgpr_workgroup_id_y 0
		.amdhsa_system_sgpr_workgroup_id_z 0
		.amdhsa_system_sgpr_workgroup_info 0
		.amdhsa_system_vgpr_workitem_id 0
		.amdhsa_next_free_vgpr 187
		.amdhsa_next_free_sgpr 20
		.amdhsa_reserve_vcc 1
		.amdhsa_float_round_mode_32 0
		.amdhsa_float_round_mode_16_64 0
		.amdhsa_float_denorm_mode_32 3
		.amdhsa_float_denorm_mode_16_64 3
		.amdhsa_fp16_overflow 0
		.amdhsa_workgroup_processor_mode 1
		.amdhsa_memory_ordered 1
		.amdhsa_forward_progress 0
		.amdhsa_round_robin_scheduling 0
		.amdhsa_exception_fp_ieee_invalid_op 0
		.amdhsa_exception_fp_denorm_src 0
		.amdhsa_exception_fp_ieee_div_zero 0
		.amdhsa_exception_fp_ieee_overflow 0
		.amdhsa_exception_fp_ieee_underflow 0
		.amdhsa_exception_fp_ieee_inexact 0
		.amdhsa_exception_int_div_zero 0
	.end_amdhsa_kernel
	.text
.Lfunc_end0:
	.size	bluestein_single_fwd_len176_dim1_sp_op_CI_CI, .Lfunc_end0-bluestein_single_fwd_len176_dim1_sp_op_CI_CI
                                        ; -- End function
	.section	.AMDGPU.csdata,"",@progbits
; Kernel info:
; codeLenInByte = 10164
; NumSgprs: 22
; NumVgprs: 187
; ScratchSize: 0
; MemoryBound: 0
; FloatMode: 240
; IeeeMode: 1
; LDSByteSize: 5632 bytes/workgroup (compile time only)
; SGPRBlocks: 2
; VGPRBlocks: 23
; NumSGPRsForWavesPerEU: 22
; NumVGPRsForWavesPerEU: 187
; Occupancy: 8
; WaveLimiterHint : 1
; COMPUTE_PGM_RSRC2:SCRATCH_EN: 0
; COMPUTE_PGM_RSRC2:USER_SGPR: 2
; COMPUTE_PGM_RSRC2:TRAP_HANDLER: 0
; COMPUTE_PGM_RSRC2:TGID_X_EN: 1
; COMPUTE_PGM_RSRC2:TGID_Y_EN: 0
; COMPUTE_PGM_RSRC2:TGID_Z_EN: 0
; COMPUTE_PGM_RSRC2:TIDIG_COMP_CNT: 0
	.text
	.p2alignl 7, 3214868480
	.fill 96, 4, 3214868480
	.type	__hip_cuid_4cb5a32ec4b41b58,@object ; @__hip_cuid_4cb5a32ec4b41b58
	.section	.bss,"aw",@nobits
	.globl	__hip_cuid_4cb5a32ec4b41b58
__hip_cuid_4cb5a32ec4b41b58:
	.byte	0                               ; 0x0
	.size	__hip_cuid_4cb5a32ec4b41b58, 1

	.ident	"AMD clang version 19.0.0git (https://github.com/RadeonOpenCompute/llvm-project roc-6.4.0 25133 c7fe45cf4b819c5991fe208aaa96edf142730f1d)"
	.section	".note.GNU-stack","",@progbits
	.addrsig
	.addrsig_sym __hip_cuid_4cb5a32ec4b41b58
	.amdgpu_metadata
---
amdhsa.kernels:
  - .args:
      - .actual_access:  read_only
        .address_space:  global
        .offset:         0
        .size:           8
        .value_kind:     global_buffer
      - .actual_access:  read_only
        .address_space:  global
        .offset:         8
        .size:           8
        .value_kind:     global_buffer
      - .actual_access:  read_only
        .address_space:  global
        .offset:         16
        .size:           8
        .value_kind:     global_buffer
      - .actual_access:  read_only
        .address_space:  global
        .offset:         24
        .size:           8
        .value_kind:     global_buffer
      - .actual_access:  read_only
        .address_space:  global
        .offset:         32
        .size:           8
        .value_kind:     global_buffer
      - .offset:         40
        .size:           8
        .value_kind:     by_value
      - .address_space:  global
        .offset:         48
        .size:           8
        .value_kind:     global_buffer
      - .address_space:  global
        .offset:         56
        .size:           8
        .value_kind:     global_buffer
      - .address_space:  global
        .offset:         64
        .size:           8
        .value_kind:     global_buffer
      - .address_space:  global
        .offset:         72
        .size:           8
        .value_kind:     global_buffer
      - .offset:         80
        .size:           4
        .value_kind:     by_value
      - .address_space:  global
        .offset:         88
        .size:           8
        .value_kind:     global_buffer
      - .address_space:  global
        .offset:         96
        .size:           8
        .value_kind:     global_buffer
    .group_segment_fixed_size: 5632
    .kernarg_segment_align: 8
    .kernarg_segment_size: 104
    .language:       OpenCL C
    .language_version:
      - 2
      - 0
    .max_flat_workgroup_size: 64
    .name:           bluestein_single_fwd_len176_dim1_sp_op_CI_CI
    .private_segment_fixed_size: 0
    .sgpr_count:     22
    .sgpr_spill_count: 0
    .symbol:         bluestein_single_fwd_len176_dim1_sp_op_CI_CI.kd
    .uniform_work_group_size: 1
    .uses_dynamic_stack: false
    .vgpr_count:     187
    .vgpr_spill_count: 0
    .wavefront_size: 32
    .workgroup_processor_mode: 1
amdhsa.target:   amdgcn-amd-amdhsa--gfx1201
amdhsa.version:
  - 1
  - 2
...

	.end_amdgpu_metadata
